;; amdgpu-corpus repo=ROCm/rocFFT kind=compiled arch=gfx1201 opt=O3
	.text
	.amdgcn_target "amdgcn-amd-amdhsa--gfx1201"
	.amdhsa_code_object_version 6
	.protected	fft_rtc_fwd_len1715_factors_5_7_7_7_wgs_245_tpt_245_halfLds_sp_op_CI_CI_sbrr_dirReg ; -- Begin function fft_rtc_fwd_len1715_factors_5_7_7_7_wgs_245_tpt_245_halfLds_sp_op_CI_CI_sbrr_dirReg
	.globl	fft_rtc_fwd_len1715_factors_5_7_7_7_wgs_245_tpt_245_halfLds_sp_op_CI_CI_sbrr_dirReg
	.p2align	8
	.type	fft_rtc_fwd_len1715_factors_5_7_7_7_wgs_245_tpt_245_halfLds_sp_op_CI_CI_sbrr_dirReg,@function
fft_rtc_fwd_len1715_factors_5_7_7_7_wgs_245_tpt_245_halfLds_sp_op_CI_CI_sbrr_dirReg: ; @fft_rtc_fwd_len1715_factors_5_7_7_7_wgs_245_tpt_245_halfLds_sp_op_CI_CI_sbrr_dirReg
; %bb.0:
	s_clause 0x2
	s_load_b128 s[12:15], s[0:1], 0x18
	s_load_b128 s[8:11], s[0:1], 0x0
	;; [unrolled: 1-line block ×3, first 2 shown]
	v_mul_u32_u24_e32 v1, 0x10c, v0
	v_mov_b32_e32 v5, 0
	v_mov_b32_e32 v7, 0
	;; [unrolled: 1-line block ×3, first 2 shown]
	s_wait_kmcnt 0x0
	s_load_b64 s[18:19], s[12:13], 0x0
	s_load_b64 s[16:17], s[14:15], 0x0
	v_lshrrev_b32_e32 v1, 16, v1
	v_cmp_lt_u64_e64 s2, s[10:11], 2
	s_delay_alu instid0(VALU_DEP_2) | instskip(NEXT) | instid1(VALU_DEP_2)
	v_dual_mov_b32 v10, v5 :: v_dual_add_nc_u32 v9, ttmp9, v1
	s_and_b32 vcc_lo, exec_lo, s2
	s_cbranch_vccnz .LBB0_8
; %bb.1:
	s_load_b64 s[2:3], s[0:1], 0x10
	v_mov_b32_e32 v7, 0
	v_mov_b32_e32 v8, 0
	s_delay_alu instid0(VALU_DEP_2)
	v_mov_b32_e32 v1, v7
	s_add_nc_u64 s[20:21], s[14:15], 8
	s_add_nc_u64 s[22:23], s[12:13], 8
	s_mov_b64 s[24:25], 1
	v_mov_b32_e32 v2, v8
	s_wait_kmcnt 0x0
	s_add_nc_u64 s[26:27], s[2:3], 8
	s_mov_b32 s3, 0
.LBB0_2:                                ; =>This Inner Loop Header: Depth=1
	s_load_b64 s[28:29], s[26:27], 0x0
                                        ; implicit-def: $vgpr3_vgpr4
	s_mov_b32 s2, exec_lo
	s_wait_kmcnt 0x0
	v_or_b32_e32 v6, s29, v10
	s_delay_alu instid0(VALU_DEP_1)
	v_cmpx_ne_u64_e32 0, v[5:6]
	s_wait_alu 0xfffe
	s_xor_b32 s30, exec_lo, s2
	s_cbranch_execz .LBB0_4
; %bb.3:                                ;   in Loop: Header=BB0_2 Depth=1
	s_cvt_f32_u32 s2, s28
	s_cvt_f32_u32 s31, s29
	s_sub_nc_u64 s[36:37], 0, s[28:29]
	s_wait_alu 0xfffe
	s_delay_alu instid0(SALU_CYCLE_1) | instskip(SKIP_1) | instid1(SALU_CYCLE_2)
	s_fmamk_f32 s2, s31, 0x4f800000, s2
	s_wait_alu 0xfffe
	v_s_rcp_f32 s2, s2
	s_delay_alu instid0(TRANS32_DEP_1) | instskip(SKIP_1) | instid1(SALU_CYCLE_2)
	s_mul_f32 s2, s2, 0x5f7ffffc
	s_wait_alu 0xfffe
	s_mul_f32 s31, s2, 0x2f800000
	s_wait_alu 0xfffe
	s_delay_alu instid0(SALU_CYCLE_2) | instskip(SKIP_1) | instid1(SALU_CYCLE_2)
	s_trunc_f32 s31, s31
	s_wait_alu 0xfffe
	s_fmamk_f32 s2, s31, 0xcf800000, s2
	s_cvt_u32_f32 s35, s31
	s_wait_alu 0xfffe
	s_delay_alu instid0(SALU_CYCLE_1) | instskip(SKIP_1) | instid1(SALU_CYCLE_2)
	s_cvt_u32_f32 s34, s2
	s_wait_alu 0xfffe
	s_mul_u64 s[38:39], s[36:37], s[34:35]
	s_wait_alu 0xfffe
	s_mul_hi_u32 s41, s34, s39
	s_mul_i32 s40, s34, s39
	s_mul_hi_u32 s2, s34, s38
	s_mul_i32 s33, s35, s38
	s_wait_alu 0xfffe
	s_add_nc_u64 s[40:41], s[2:3], s[40:41]
	s_mul_hi_u32 s31, s35, s38
	s_mul_hi_u32 s42, s35, s39
	s_add_co_u32 s2, s40, s33
	s_wait_alu 0xfffe
	s_add_co_ci_u32 s2, s41, s31
	s_mul_i32 s38, s35, s39
	s_add_co_ci_u32 s39, s42, 0
	s_wait_alu 0xfffe
	s_add_nc_u64 s[38:39], s[2:3], s[38:39]
	s_wait_alu 0xfffe
	v_add_co_u32 v3, s2, s34, s38
	s_delay_alu instid0(VALU_DEP_1) | instskip(SKIP_1) | instid1(VALU_DEP_1)
	s_cmp_lg_u32 s2, 0
	s_add_co_ci_u32 s35, s35, s39
	v_readfirstlane_b32 s34, v3
	s_wait_alu 0xfffe
	s_delay_alu instid0(VALU_DEP_1)
	s_mul_u64 s[36:37], s[36:37], s[34:35]
	s_wait_alu 0xfffe
	s_mul_hi_u32 s39, s34, s37
	s_mul_i32 s38, s34, s37
	s_mul_hi_u32 s2, s34, s36
	s_mul_i32 s33, s35, s36
	s_wait_alu 0xfffe
	s_add_nc_u64 s[38:39], s[2:3], s[38:39]
	s_mul_hi_u32 s31, s35, s36
	s_mul_hi_u32 s34, s35, s37
	s_wait_alu 0xfffe
	s_add_co_u32 s2, s38, s33
	s_add_co_ci_u32 s2, s39, s31
	s_mul_i32 s36, s35, s37
	s_add_co_ci_u32 s37, s34, 0
	s_wait_alu 0xfffe
	s_add_nc_u64 s[36:37], s[2:3], s[36:37]
	s_wait_alu 0xfffe
	v_add_co_u32 v6, s2, v3, s36
	s_delay_alu instid0(VALU_DEP_1) | instskip(SKIP_1) | instid1(VALU_DEP_1)
	s_cmp_lg_u32 s2, 0
	s_add_co_ci_u32 s2, s35, s37
	v_mul_hi_u32 v15, v9, v6
	s_wait_alu 0xfffe
	v_mad_co_u64_u32 v[3:4], null, v9, s2, 0
	v_mad_co_u64_u32 v[11:12], null, v10, v6, 0
	;; [unrolled: 1-line block ×3, first 2 shown]
	s_delay_alu instid0(VALU_DEP_3) | instskip(SKIP_1) | instid1(VALU_DEP_4)
	v_add_co_u32 v3, vcc_lo, v15, v3
	s_wait_alu 0xfffd
	v_add_co_ci_u32_e32 v4, vcc_lo, 0, v4, vcc_lo
	s_delay_alu instid0(VALU_DEP_2) | instskip(SKIP_1) | instid1(VALU_DEP_2)
	v_add_co_u32 v3, vcc_lo, v3, v11
	s_wait_alu 0xfffd
	v_add_co_ci_u32_e32 v3, vcc_lo, v4, v12, vcc_lo
	s_wait_alu 0xfffd
	v_add_co_ci_u32_e32 v4, vcc_lo, 0, v14, vcc_lo
	s_delay_alu instid0(VALU_DEP_2) | instskip(SKIP_1) | instid1(VALU_DEP_2)
	v_add_co_u32 v6, vcc_lo, v3, v13
	s_wait_alu 0xfffd
	v_add_co_ci_u32_e32 v11, vcc_lo, 0, v4, vcc_lo
	s_delay_alu instid0(VALU_DEP_2) | instskip(SKIP_1) | instid1(VALU_DEP_3)
	v_mul_lo_u32 v12, s29, v6
	v_mad_co_u64_u32 v[3:4], null, s28, v6, 0
	v_mul_lo_u32 v13, s28, v11
	s_delay_alu instid0(VALU_DEP_2) | instskip(NEXT) | instid1(VALU_DEP_2)
	v_sub_co_u32 v3, vcc_lo, v9, v3
	v_add3_u32 v4, v4, v13, v12
	s_delay_alu instid0(VALU_DEP_1) | instskip(SKIP_1) | instid1(VALU_DEP_1)
	v_sub_nc_u32_e32 v12, v10, v4
	s_wait_alu 0xfffd
	v_subrev_co_ci_u32_e64 v12, s2, s29, v12, vcc_lo
	v_add_co_u32 v13, s2, v6, 2
	s_wait_alu 0xf1ff
	v_add_co_ci_u32_e64 v14, s2, 0, v11, s2
	v_sub_co_u32 v15, s2, v3, s28
	v_sub_co_ci_u32_e32 v4, vcc_lo, v10, v4, vcc_lo
	s_wait_alu 0xf1ff
	v_subrev_co_ci_u32_e64 v12, s2, 0, v12, s2
	s_delay_alu instid0(VALU_DEP_3) | instskip(NEXT) | instid1(VALU_DEP_3)
	v_cmp_le_u32_e32 vcc_lo, s28, v15
	v_cmp_eq_u32_e64 s2, s29, v4
	s_wait_alu 0xfffd
	v_cndmask_b32_e64 v15, 0, -1, vcc_lo
	v_cmp_le_u32_e32 vcc_lo, s29, v12
	s_wait_alu 0xfffd
	v_cndmask_b32_e64 v16, 0, -1, vcc_lo
	v_cmp_le_u32_e32 vcc_lo, s28, v3
	;; [unrolled: 3-line block ×3, first 2 shown]
	s_wait_alu 0xfffd
	v_cndmask_b32_e64 v17, 0, -1, vcc_lo
	v_cmp_eq_u32_e32 vcc_lo, s29, v12
	s_wait_alu 0xf1ff
	s_delay_alu instid0(VALU_DEP_2)
	v_cndmask_b32_e64 v3, v17, v3, s2
	s_wait_alu 0xfffd
	v_cndmask_b32_e32 v12, v16, v15, vcc_lo
	v_add_co_u32 v15, vcc_lo, v6, 1
	s_wait_alu 0xfffd
	v_add_co_ci_u32_e32 v16, vcc_lo, 0, v11, vcc_lo
	s_delay_alu instid0(VALU_DEP_3) | instskip(SKIP_2) | instid1(VALU_DEP_3)
	v_cmp_ne_u32_e32 vcc_lo, 0, v12
	s_wait_alu 0xfffd
	v_cndmask_b32_e32 v12, v15, v13, vcc_lo
	v_cndmask_b32_e32 v4, v16, v14, vcc_lo
	v_cmp_ne_u32_e32 vcc_lo, 0, v3
	s_wait_alu 0xfffd
	s_delay_alu instid0(VALU_DEP_3) | instskip(NEXT) | instid1(VALU_DEP_3)
	v_cndmask_b32_e32 v3, v6, v12, vcc_lo
	v_cndmask_b32_e32 v4, v11, v4, vcc_lo
.LBB0_4:                                ;   in Loop: Header=BB0_2 Depth=1
	s_wait_alu 0xfffe
	s_and_not1_saveexec_b32 s2, s30
	s_cbranch_execz .LBB0_6
; %bb.5:                                ;   in Loop: Header=BB0_2 Depth=1
	v_cvt_f32_u32_e32 v3, s28
	s_sub_co_i32 s30, 0, s28
	s_delay_alu instid0(VALU_DEP_1) | instskip(NEXT) | instid1(TRANS32_DEP_1)
	v_rcp_iflag_f32_e32 v3, v3
	v_mul_f32_e32 v3, 0x4f7ffffe, v3
	s_delay_alu instid0(VALU_DEP_1) | instskip(SKIP_1) | instid1(VALU_DEP_1)
	v_cvt_u32_f32_e32 v3, v3
	s_wait_alu 0xfffe
	v_mul_lo_u32 v4, s30, v3
	s_delay_alu instid0(VALU_DEP_1) | instskip(NEXT) | instid1(VALU_DEP_1)
	v_mul_hi_u32 v4, v3, v4
	v_add_nc_u32_e32 v3, v3, v4
	s_delay_alu instid0(VALU_DEP_1) | instskip(NEXT) | instid1(VALU_DEP_1)
	v_mul_hi_u32 v3, v9, v3
	v_mul_lo_u32 v4, v3, s28
	v_add_nc_u32_e32 v6, 1, v3
	s_delay_alu instid0(VALU_DEP_2) | instskip(NEXT) | instid1(VALU_DEP_1)
	v_sub_nc_u32_e32 v4, v9, v4
	v_subrev_nc_u32_e32 v11, s28, v4
	v_cmp_le_u32_e32 vcc_lo, s28, v4
	s_wait_alu 0xfffd
	s_delay_alu instid0(VALU_DEP_2) | instskip(NEXT) | instid1(VALU_DEP_1)
	v_dual_cndmask_b32 v4, v4, v11 :: v_dual_cndmask_b32 v3, v3, v6
	v_cmp_le_u32_e32 vcc_lo, s28, v4
	s_delay_alu instid0(VALU_DEP_2) | instskip(SKIP_1) | instid1(VALU_DEP_1)
	v_add_nc_u32_e32 v6, 1, v3
	s_wait_alu 0xfffd
	v_dual_mov_b32 v4, v5 :: v_dual_cndmask_b32 v3, v3, v6
.LBB0_6:                                ;   in Loop: Header=BB0_2 Depth=1
	s_wait_alu 0xfffe
	s_or_b32 exec_lo, exec_lo, s2
	s_delay_alu instid0(VALU_DEP_1) | instskip(NEXT) | instid1(VALU_DEP_2)
	v_mul_lo_u32 v6, v4, s28
	v_mul_lo_u32 v13, v3, s29
	s_load_b64 s[30:31], s[22:23], 0x0
	v_mad_co_u64_u32 v[11:12], null, v3, s28, 0
	s_load_b64 s[28:29], s[20:21], 0x0
	s_add_nc_u64 s[24:25], s[24:25], 1
	s_add_nc_u64 s[20:21], s[20:21], 8
	s_wait_alu 0xfffe
	v_cmp_ge_u64_e64 s2, s[24:25], s[10:11]
	s_add_nc_u64 s[22:23], s[22:23], 8
	s_add_nc_u64 s[26:27], s[26:27], 8
	v_add3_u32 v6, v12, v13, v6
	v_sub_co_u32 v9, vcc_lo, v9, v11
	s_wait_alu 0xfffd
	s_delay_alu instid0(VALU_DEP_2) | instskip(SKIP_2) | instid1(VALU_DEP_1)
	v_sub_co_ci_u32_e32 v6, vcc_lo, v10, v6, vcc_lo
	s_and_b32 vcc_lo, exec_lo, s2
	s_wait_kmcnt 0x0
	v_mul_lo_u32 v10, s30, v6
	v_mul_lo_u32 v11, s31, v9
	v_mad_co_u64_u32 v[7:8], null, s30, v9, v[7:8]
	v_mul_lo_u32 v6, s28, v6
	v_mul_lo_u32 v12, s29, v9
	v_mad_co_u64_u32 v[1:2], null, s28, v9, v[1:2]
	s_delay_alu instid0(VALU_DEP_4) | instskip(NEXT) | instid1(VALU_DEP_2)
	v_add3_u32 v8, v11, v8, v10
	v_add3_u32 v2, v12, v2, v6
	s_wait_alu 0xfffe
	s_cbranch_vccnz .LBB0_9
; %bb.7:                                ;   in Loop: Header=BB0_2 Depth=1
	v_dual_mov_b32 v10, v4 :: v_dual_mov_b32 v9, v3
	s_branch .LBB0_2
.LBB0_8:
	v_dual_mov_b32 v1, v7 :: v_dual_mov_b32 v2, v8
	s_delay_alu instid0(VALU_DEP_2)
	v_dual_mov_b32 v3, v9 :: v_dual_mov_b32 v4, v10
.LBB0_9:
	s_load_b64 s[0:1], s[0:1], 0x28
	v_mul_hi_u32 v5, 0x10b7e6f, v0
	s_lshl_b64 s[10:11], s[10:11], 3
                                        ; implicit-def: $vgpr26
	s_wait_alu 0xfffe
	s_add_nc_u64 s[2:3], s[14:15], s[10:11]
                                        ; implicit-def: $sgpr14
	s_wait_kmcnt 0x0
	v_cmp_gt_u64_e32 vcc_lo, s[0:1], v[3:4]
	v_cmp_le_u64_e64 s0, s[0:1], v[3:4]
	s_delay_alu instid0(VALU_DEP_1)
	s_and_saveexec_b32 s1, s0
	s_wait_alu 0xfffe
	s_xor_b32 s0, exec_lo, s1
; %bb.10:
	v_mul_u32_u24_e32 v5, 0xf5, v5
	s_mov_b32 s14, 0
                                        ; implicit-def: $vgpr7_vgpr8
	s_delay_alu instid0(VALU_DEP_1)
	v_sub_nc_u32_e32 v26, v0, v5
                                        ; implicit-def: $vgpr5
                                        ; implicit-def: $vgpr0
; %bb.11:
	s_wait_alu 0xfffe
	s_or_saveexec_b32 s1, s0
	s_load_b64 s[2:3], s[2:3], 0x0
	v_mov_b32_e32 v27, s14
                                        ; implicit-def: $vgpr6
                                        ; implicit-def: $vgpr11
                                        ; implicit-def: $vgpr13
                                        ; implicit-def: $vgpr9
                                        ; implicit-def: $vgpr19
                                        ; implicit-def: $vgpr21
                                        ; implicit-def: $vgpr25
                                        ; implicit-def: $vgpr23
                                        ; implicit-def: $vgpr17
                                        ; implicit-def: $vgpr15
	s_xor_b32 exec_lo, exec_lo, s1
	s_cbranch_execz .LBB0_15
; %bb.12:
	s_add_nc_u64 s[10:11], s[12:13], s[10:11]
	v_mul_u32_u24_e32 v5, 0xf5, v5
	s_load_b64 s[10:11], s[10:11], 0x0
	v_lshlrev_b64_e32 v[7:8], 3, v[7:8]
	s_delay_alu instid0(VALU_DEP_2) | instskip(NEXT) | instid1(VALU_DEP_1)
	v_sub_nc_u32_e32 v26, v0, v5
	v_mad_co_u64_u32 v[5:6], null, s18, v26, 0
	v_add_nc_u32_e32 v21, 0x157, v26
	v_add_nc_u32_e32 v22, 0x2ae, v26
	;; [unrolled: 1-line block ×3, first 2 shown]
	s_delay_alu instid0(VALU_DEP_4) | instskip(NEXT) | instid1(VALU_DEP_4)
	v_mov_b32_e32 v0, v6
	v_mad_co_u64_u32 v[9:10], null, s18, v21, 0
	s_wait_kmcnt 0x0
	v_mul_lo_u32 v6, s11, v3
	v_mul_lo_u32 v25, s10, v4
	v_mad_co_u64_u32 v[15:16], null, s10, v3, 0
	v_add_nc_u32_e32 v23, 0x405, v26
	v_mad_co_u64_u32 v[11:12], null, s18, v22, 0
	v_mad_co_u64_u32 v[19:20], null, s19, v26, v[0:1]
	v_mov_b32_e32 v0, v10
	s_delay_alu instid0(VALU_DEP_4) | instskip(SKIP_4) | instid1(VALU_DEP_4)
	v_mad_co_u64_u32 v[13:14], null, s18, v23, 0
	v_add3_u32 v16, v16, v25, v6
	v_mad_co_u64_u32 v[17:18], null, s18, v24, 0
	v_mov_b32_e32 v10, v12
	v_mad_co_u64_u32 v[20:21], null, s19, v21, v[0:1]
	v_lshlrev_b64_e32 v[15:16], 3, v[15:16]
	v_mov_b32_e32 v12, v14
	v_mov_b32_e32 v6, v19
	;; [unrolled: 1-line block ×3, first 2 shown]
	v_mad_co_u64_u32 v[18:19], null, s19, v22, v[10:11]
	v_add_co_u32 v0, s0, s4, v15
	v_mad_co_u64_u32 v[21:22], null, s19, v23, v[12:13]
	s_wait_alu 0xf1ff
	v_add_co_ci_u32_e64 v12, s0, s5, v16, s0
	v_mov_b32_e32 v10, v20
	v_add_co_u32 v0, s0, v0, v7
	v_lshlrev_b64_e32 v[5:6], 3, v[5:6]
	s_wait_alu 0xf1ff
	v_add_co_ci_u32_e64 v7, s0, v12, v8, s0
	v_mov_b32_e32 v12, v18
	v_mad_co_u64_u32 v[15:16], null, s19, v24, v[14:15]
	v_lshlrev_b64_e32 v[8:9], 3, v[9:10]
	v_add_co_u32 v5, s0, v0, v5
	s_delay_alu instid0(VALU_DEP_4)
	v_lshlrev_b64_e32 v[10:11], 3, v[11:12]
	v_mov_b32_e32 v14, v21
	s_wait_alu 0xf1ff
	v_add_co_ci_u32_e64 v6, s0, v7, v6, s0
	v_add_co_u32 v8, s0, v0, v8
	v_mov_b32_e32 v18, v15
	s_wait_alu 0xf1ff
	v_add_co_ci_u32_e64 v9, s0, v7, v9, s0
	v_lshlrev_b64_e32 v[12:13], 3, v[13:14]
	v_add_co_u32 v14, s0, v0, v10
	s_wait_alu 0xf1ff
	v_add_co_ci_u32_e64 v15, s0, v7, v11, s0
	v_lshlrev_b64_e32 v[10:11], 3, v[17:18]
	s_delay_alu instid0(VALU_DEP_4) | instskip(SKIP_3) | instid1(VALU_DEP_3)
	v_add_co_u32 v16, s0, v0, v12
	s_wait_alu 0xf1ff
	v_add_co_ci_u32_e64 v17, s0, v7, v13, s0
	s_mov_b32 s4, exec_lo
	v_add_co_u32 v18, s0, v0, v10
	s_wait_alu 0xf1ff
	v_add_co_ci_u32_e64 v19, s0, v7, v11, s0
	s_clause 0x4
	global_load_b64 v[5:6], v[5:6], off
	global_load_b64 v[10:11], v[8:9], off
	;; [unrolled: 1-line block ×5, first 2 shown]
                                        ; implicit-def: $vgpr16
                                        ; implicit-def: $vgpr22
                                        ; implicit-def: $vgpr24
                                        ; implicit-def: $vgpr20
                                        ; implicit-def: $vgpr18
	v_cmpx_gt_u32_e32 0x62, v26
	s_cbranch_execz .LBB0_14
; %bb.13:
	v_add_nc_u32_e32 v31, 0x3a3, v26
	v_add_nc_u32_e32 v29, 0x24c, v26
	;; [unrolled: 1-line block ×3, first 2 shown]
	s_delay_alu instid0(VALU_DEP_3) | instskip(SKIP_1) | instid1(VALU_DEP_4)
	v_mad_co_u64_u32 v[20:21], null, s18, v31, 0
	v_add_nc_u32_e32 v24, 0xf5, v26
	v_mad_co_u64_u32 v[18:19], null, s18, v29, 0
	s_delay_alu instid0(VALU_DEP_4) | instskip(NEXT) | instid1(VALU_DEP_3)
	v_mad_co_u64_u32 v[27:28], null, s18, v33, 0
	v_mad_co_u64_u32 v[16:17], null, s18, v24, 0
	s_delay_alu instid0(VALU_DEP_3) | instskip(NEXT) | instid1(VALU_DEP_2)
	v_mad_co_u64_u32 v[29:30], null, s19, v29, v[19:20]
	v_mad_co_u64_u32 v[24:25], null, s19, v24, v[17:18]
	v_dual_mov_b32 v17, v21 :: v_dual_add_nc_u32 v32, 0x4fa, v26
	s_delay_alu instid0(VALU_DEP_3) | instskip(NEXT) | instid1(VALU_DEP_2)
	v_mov_b32_e32 v19, v29
	v_mad_co_u64_u32 v[30:31], null, s19, v31, v[17:18]
	s_delay_alu instid0(VALU_DEP_4) | instskip(NEXT) | instid1(VALU_DEP_4)
	v_mov_b32_e32 v17, v24
	v_mad_co_u64_u32 v[22:23], null, s18, v32, 0
	s_delay_alu instid0(VALU_DEP_4) | instskip(NEXT) | instid1(VALU_DEP_3)
	v_lshlrev_b64_e32 v[18:19], 3, v[18:19]
	v_lshlrev_b64_e32 v[16:17], 3, v[16:17]
	s_delay_alu instid0(VALU_DEP_3) | instskip(SKIP_1) | instid1(VALU_DEP_3)
	v_mov_b32_e32 v21, v23
	v_mov_b32_e32 v23, v28
	v_add_co_u32 v16, s0, v0, v16
	s_wait_alu 0xf1ff
	s_delay_alu instid0(VALU_DEP_4)
	v_add_co_ci_u32_e64 v17, s0, v7, v17, s0
	v_mad_co_u64_u32 v[24:25], null, s19, v32, v[21:22]
	v_mov_b32_e32 v21, v30
	v_add_co_u32 v18, s0, v0, v18
	s_wait_alu 0xf1ff
	v_add_co_ci_u32_e64 v19, s0, v7, v19, s0
	s_delay_alu instid0(VALU_DEP_3) | instskip(SKIP_2) | instid1(VALU_DEP_3)
	v_lshlrev_b64_e32 v[20:21], 3, v[20:21]
	v_mad_co_u64_u32 v[28:29], null, s19, v33, v[23:24]
	v_mov_b32_e32 v23, v24
	v_add_co_u32 v20, s0, v0, v20
	s_delay_alu instid0(VALU_DEP_2) | instskip(NEXT) | instid1(VALU_DEP_4)
	v_lshlrev_b64_e32 v[22:23], 3, v[22:23]
	v_lshlrev_b64_e32 v[24:25], 3, v[27:28]
	s_wait_alu 0xf1ff
	v_add_co_ci_u32_e64 v21, s0, v7, v21, s0
	s_delay_alu instid0(VALU_DEP_3)
	v_add_co_u32 v27, s0, v0, v22
	s_wait_alu 0xf1ff
	v_add_co_ci_u32_e64 v28, s0, v7, v23, s0
	v_add_co_u32 v29, s0, v0, v24
	s_wait_alu 0xf1ff
	v_add_co_ci_u32_e64 v30, s0, v7, v25, s0
	s_clause 0x4
	global_load_b64 v[16:17], v[16:17], off
	global_load_b64 v[22:23], v[18:19], off
	;; [unrolled: 1-line block ×5, first 2 shown]
.LBB0_14:
	s_wait_alu 0xfffe
	s_or_b32 exec_lo, exec_lo, s4
	v_mov_b32_e32 v27, v26
.LBB0_15:
	s_or_b32 exec_lo, exec_lo, s1
	s_wait_loadcnt 0x1
	v_dual_add_f32 v0, v5, v10 :: v_dual_add_f32 v7, v14, v12
	s_wait_loadcnt 0x0
	v_dual_sub_f32 v28, v11, v9 :: v_dual_add_f32 v29, v10, v8
	v_dual_sub_f32 v30, v13, v15 :: v_dual_sub_f32 v31, v10, v12
	s_delay_alu instid0(VALU_DEP_3) | instskip(SKIP_1) | instid1(VALU_DEP_4)
	v_add_f32_e32 v0, v0, v12
	v_fma_f32 v7, -0.5, v7, v5
	v_fmac_f32_e32 v5, -0.5, v29
	v_cmp_gt_u32_e64 s0, 0x62, v26
	s_delay_alu instid0(VALU_DEP_4) | instskip(NEXT) | instid1(VALU_DEP_4)
	v_dual_sub_f32 v35, v14, v8 :: v_dual_add_f32 v0, v0, v14
	v_fmamk_f32 v32, v28, 0x3f737871, v7
	v_fmac_f32_e32 v7, 0xbf737871, v28
	s_delay_alu instid0(VALU_DEP_3) | instskip(SKIP_1) | instid1(VALU_DEP_4)
	v_dual_fmamk_f32 v33, v30, 0xbf737871, v5 :: v_dual_add_f32 v34, v0, v8
	v_sub_f32_e32 v0, v12, v10
	v_fmac_f32_e32 v32, 0x3f167918, v30
	s_delay_alu instid0(VALU_DEP_4) | instskip(NEXT) | instid1(VALU_DEP_4)
	v_fmac_f32_e32 v7, 0xbf167918, v30
	v_fmac_f32_e32 v33, 0x3f167918, v28
	s_delay_alu instid0(VALU_DEP_4) | instskip(SKIP_2) | instid1(VALU_DEP_3)
	v_dual_fmac_f32 v5, 0x3f737871, v30 :: v_dual_add_f32 v30, v0, v35
	v_mad_u32_u24 v0, v26, 20, 0
	v_sub_f32_e32 v29, v8, v14
	v_fmac_f32_e32 v5, 0xbf167918, v28
	s_delay_alu instid0(VALU_DEP_4) | instskip(NEXT) | instid1(VALU_DEP_3)
	v_fmac_f32_e32 v33, 0x3e9e377a, v30
	v_dual_add_f32 v29, v31, v29 :: v_dual_add_nc_u32 v28, 0x1324, v0
	s_delay_alu instid0(VALU_DEP_1)
	v_dual_fmac_f32 v5, 0x3e9e377a, v30 :: v_dual_fmac_f32 v32, 0x3e9e377a, v29
	v_fmac_f32_e32 v7, 0x3e9e377a, v29
	v_add_nc_u32_e32 v29, 0x132c, v0
	ds_store_2addr_b32 v0, v34, v32 offset1:1
	ds_store_2addr_b32 v0, v33, v5 offset0:2 offset1:3
	ds_store_b32 v0, v7 offset:16
	s_and_saveexec_b32 s1, s0
	s_cbranch_execz .LBB0_17
; %bb.16:
	v_dual_add_f32 v5, v18, v22 :: v_dual_add_f32 v32, v20, v24
	v_dual_sub_f32 v30, v20, v18 :: v_dual_sub_f32 v31, v25, v21
	v_sub_f32_e32 v33, v23, v19
	s_delay_alu instid0(VALU_DEP_3) | instskip(SKIP_1) | instid1(VALU_DEP_1)
	v_fma_f32 v5, -0.5, v5, v16
	v_dual_sub_f32 v7, v24, v22 :: v_dual_sub_f32 v34, v22, v24
	v_add_f32_e32 v7, v30, v7
	v_fma_f32 v30, -0.5, v32, v16
	s_delay_alu instid0(VALU_DEP_4) | instskip(SKIP_1) | instid1(VALU_DEP_3)
	v_fmamk_f32 v32, v31, 0x3f737871, v5
	v_dual_fmac_f32 v5, 0xbf737871, v31 :: v_dual_add_f32 v16, v22, v16
	v_dual_sub_f32 v35, v18, v20 :: v_dual_fmamk_f32 v36, v33, 0xbf737871, v30
	v_fmac_f32_e32 v30, 0x3f737871, v33
	s_delay_alu instid0(VALU_DEP_3) | instskip(NEXT) | instid1(VALU_DEP_3)
	v_dual_fmac_f32 v5, 0x3f167918, v33 :: v_dual_add_f32 v16, v24, v16
	v_dual_fmac_f32 v32, 0xbf167918, v33 :: v_dual_add_f32 v33, v35, v34
	s_delay_alu instid0(VALU_DEP_4) | instskip(NEXT) | instid1(VALU_DEP_3)
	v_fmac_f32_e32 v36, 0xbf167918, v31
	v_dual_fmac_f32 v5, 0x3e9e377a, v7 :: v_dual_add_f32 v16, v20, v16
	v_fmac_f32_e32 v30, 0x3f167918, v31
	s_delay_alu instid0(VALU_DEP_4) | instskip(NEXT) | instid1(VALU_DEP_3)
	v_fmac_f32_e32 v32, 0x3e9e377a, v7
	v_dual_fmac_f32 v36, 0x3e9e377a, v33 :: v_dual_add_f32 v7, v18, v16
	s_delay_alu instid0(VALU_DEP_3)
	v_fmac_f32_e32 v30, 0x3e9e377a, v33
	ds_store_2addr_b32 v29, v5, v32 offset1:1
	ds_store_2addr_b32 v28, v7, v30 offset1:1
	ds_store_b32 v0, v36 offset:4916
.LBB0_17:
	s_wait_alu 0xfffe
	s_or_b32 exec_lo, exec_lo, s1
	v_dual_add_f32 v5, v15, v13 :: v_dual_sub_f32 v16, v10, v8
	v_dual_add_f32 v7, v6, v11 :: v_dual_sub_f32 v14, v12, v14
	v_dual_sub_f32 v31, v11, v13 :: v_dual_sub_f32 v32, v9, v15
	s_delay_alu instid0(VALU_DEP_3)
	v_fma_f32 v30, -0.5, v5, v6
	v_add_f32_e32 v8, v11, v9
	global_wb scope:SCOPE_SE
	s_wait_dscnt 0x0
	s_wait_kmcnt 0x0
	s_barrier_signal -1
	v_sub_f32_e32 v37, v13, v11
	v_fmamk_f32 v33, v16, 0xbf737871, v30
	v_dual_add_f32 v5, v7, v13 :: v_dual_fmac_f32 v6, -0.5, v8
	v_lshlrev_b32_e32 v34, 4, v26
	v_fmac_f32_e32 v30, 0x3f737871, v16
	s_barrier_wait -1
	s_delay_alu instid0(VALU_DEP_3)
	v_dual_add_f32 v35, v5, v15 :: v_dual_fmamk_f32 v36, v14, 0x3f737871, v6
	v_sub_f32_e32 v15, v15, v9
	v_sub_nc_u32_e32 v5, v0, v34
	v_fmac_f32_e32 v33, 0xbf167918, v14
	global_inv scope:SCOPE_SE
	v_fmac_f32_e32 v36, 0xbf167918, v16
	v_fmac_f32_e32 v6, 0xbf737871, v14
	v_dual_add_f32 v31, v31, v32 :: v_dual_add_nc_u32 v10, 0x780, v5
	v_add_nc_u32_e32 v11, 0xf40, v5
	v_fmac_f32_e32 v30, 0x3f167918, v14
	v_add_f32_e32 v14, v37, v15
	ds_load_2addr_b32 v[7:8], v5 offset1:245
	ds_load_2addr_b32 v[12:13], v10 offset0:10 offset1:255
	ds_load_2addr_b32 v[10:11], v11 offset0:4 offset1:249
	ds_load_b32 v5, v5 offset:5880
	v_dual_add_f32 v15, v35, v9 :: v_dual_fmac_f32 v6, 0x3f167918, v16
	v_dual_fmac_f32 v33, 0x3e9e377a, v31 :: v_dual_fmac_f32 v36, 0x3e9e377a, v14
	v_sub_nc_u32_e32 v9, 0, v34
	v_fmac_f32_e32 v30, 0x3e9e377a, v31
	s_delay_alu instid0(VALU_DEP_4)
	v_fmac_f32_e32 v6, 0x3e9e377a, v14
	global_wb scope:SCOPE_SE
	s_wait_dscnt 0x0
	s_barrier_signal -1
	s_barrier_wait -1
	global_inv scope:SCOPE_SE
	ds_store_2addr_b32 v0, v15, v33 offset1:1
	ds_store_2addr_b32 v0, v36, v6 offset0:2 offset1:3
	ds_store_b32 v0, v30 offset:16
	s_and_saveexec_b32 s1, s0
	s_cbranch_execz .LBB0_19
; %bb.18:
	v_dual_add_f32 v6, v21, v25 :: v_dual_sub_f32 v15, v22, v18
	v_sub_f32_e32 v18, v24, v20
	v_add_f32_e32 v16, v19, v23
	v_add_f32_e32 v14, v23, v17
	s_delay_alu instid0(VALU_DEP_4) | instskip(NEXT) | instid1(VALU_DEP_3)
	v_fma_f32 v6, -0.5, v6, v17
	v_dual_sub_f32 v20, v23, v25 :: v_dual_fmac_f32 v17, -0.5, v16
	s_delay_alu instid0(VALU_DEP_3) | instskip(SKIP_1) | instid1(VALU_DEP_3)
	v_add_f32_e32 v14, v25, v14
	v_sub_f32_e32 v16, v25, v23
	v_dual_sub_f32 v23, v21, v19 :: v_dual_fmamk_f32 v24, v18, 0x3f737871, v17
	s_delay_alu instid0(VALU_DEP_1) | instskip(NEXT) | instid1(VALU_DEP_2)
	v_dual_fmac_f32 v17, 0xbf737871, v18 :: v_dual_add_f32 v16, v23, v16
	v_fmac_f32_e32 v24, 0xbf167918, v15
	s_delay_alu instid0(VALU_DEP_2)
	v_dual_fmac_f32 v17, 0x3f167918, v15 :: v_dual_add_f32 v14, v21, v14
	v_sub_f32_e32 v21, v19, v21
	v_fmamk_f32 v22, v15, 0xbf737871, v6
	v_fmac_f32_e32 v6, 0x3f737871, v15
	v_fmac_f32_e32 v24, 0x3e9e377a, v16
	;; [unrolled: 1-line block ×3, first 2 shown]
	s_delay_alu instid0(VALU_DEP_4) | instskip(NEXT) | instid1(VALU_DEP_4)
	v_dual_add_f32 v15, v21, v20 :: v_dual_fmac_f32 v22, 0xbf167918, v18
	v_fmac_f32_e32 v6, 0x3f167918, v18
	v_add_f32_e32 v14, v19, v14
	s_delay_alu instid0(VALU_DEP_3) | instskip(NEXT) | instid1(VALU_DEP_3)
	v_fmac_f32_e32 v22, 0x3e9e377a, v15
	v_fmac_f32_e32 v6, 0x3e9e377a, v15
	ds_store_2addr_b32 v29, v24, v17 offset1:1
	ds_store_2addr_b32 v28, v14, v22 offset1:1
	ds_store_b32 v0, v6 offset:4916
.LBB0_19:
	s_wait_alu 0xfffe
	s_or_b32 exec_lo, exec_lo, s1
	v_and_b32_e32 v6, 0xff, v26
	global_wb scope:SCOPE_SE
	s_wait_dscnt 0x0
	s_barrier_signal -1
	s_barrier_wait -1
	global_inv scope:SCOPE_SE
	v_mul_lo_u16 v14, 0xcd, v6
	v_mul_lo_u16 v6, 0xeb, v6
	s_delay_alu instid0(VALU_DEP_2) | instskip(NEXT) | instid1(VALU_DEP_2)
	v_lshrrev_b16 v32, 10, v14
	v_lshrrev_b16 v35, 13, v6
	s_delay_alu instid0(VALU_DEP_2) | instskip(NEXT) | instid1(VALU_DEP_2)
	v_mul_lo_u16 v14, v32, 5
	v_mul_lo_u16 v6, v35, 35
	s_delay_alu instid0(VALU_DEP_2) | instskip(NEXT) | instid1(VALU_DEP_2)
	v_sub_nc_u16 v14, v26, v14
	v_sub_nc_u16 v6, v26, v6
	s_delay_alu instid0(VALU_DEP_2) | instskip(NEXT) | instid1(VALU_DEP_1)
	v_and_b32_e32 v34, 0xff, v14
	v_mul_u32_u24_e32 v14, 6, v34
	s_delay_alu instid0(VALU_DEP_1)
	v_lshlrev_b32_e32 v22, 3, v14
	s_clause 0x2
	global_load_b128 v[14:17], v22, s[8:9]
	global_load_b128 v[18:21], v22, s[8:9] offset:16
	global_load_b128 v[22:25], v22, s[8:9] offset:32
	v_add_nc_u32_e32 v0, v0, v9
	v_and_b32_e32 v9, 0xffff, v32
	v_and_b32_e32 v38, 0xff, v6
	s_delay_alu instid0(VALU_DEP_3)
	v_add_nc_u32_e32 v36, 0x780, v0
	ds_load_2addr_b32 v[30:31], v36 offset0:10 offset1:255
	s_wait_loadcnt_dscnt 0x100
	v_dual_mul_f32 v40, v30, v17 :: v_dual_mul_f32 v41, v31, v19
	v_mul_f32_e32 v19, v13, v19
	v_add_nc_u32_e32 v37, 0xf40, v0
	ds_load_2addr_b32 v[28:29], v0 offset1:245
	v_mul_f32_e32 v17, v12, v17
	ds_load_2addr_b32 v[32:33], v37 offset0:4 offset1:249
	ds_load_b32 v6, v0 offset:5880
	v_lshlrev_b32_e32 v34, 2, v34
	v_fma_f32 v12, v12, v16, -v40
	v_fma_f32 v13, v13, v18, -v41
	global_wb scope:SCOPE_SE
	s_wait_loadcnt_dscnt 0x0
	s_barrier_signal -1
	s_barrier_wait -1
	global_inv scope:SCOPE_SE
	v_dual_mul_f32 v43, v33, v23 :: v_dual_mul_f32 v42, v32, v21
	v_mul_u32_u24_e32 v9, 0x8c, v9
	v_mul_f32_e32 v21, v10, v21
	v_mul_u32_u24_e32 v39, 6, v38
	v_dual_mul_f32 v23, v11, v23 :: v_dual_mul_f32 v44, v6, v25
	s_delay_alu instid0(VALU_DEP_4) | instskip(NEXT) | instid1(VALU_DEP_3)
	v_add3_u32 v9, 0, v9, v34
	v_dual_mul_f32 v25, v5, v25 :: v_dual_lshlrev_b32 v34, 3, v39
	v_mul_f32_e32 v39, v29, v15
	v_mul_f32_e32 v15, v8, v15
	v_fma_f32 v10, v10, v20, -v42
	s_delay_alu instid0(VALU_DEP_4)
	v_fmac_f32_e32 v25, v6, v24
	v_fmac_f32_e32 v21, v32, v20
	;; [unrolled: 1-line block ×4, first 2 shown]
	v_fma_f32 v8, v8, v14, -v39
	v_fmac_f32_e32 v15, v29, v14
	v_fma_f32 v5, v5, v24, -v44
	v_fma_f32 v6, v11, v22, -v43
	v_dual_add_f32 v18, v19, v21 :: v_dual_fmac_f32 v17, v30, v16
	s_delay_alu instid0(VALU_DEP_4) | instskip(NEXT) | instid1(VALU_DEP_4)
	v_add_f32_e32 v14, v15, v25
	v_add_f32_e32 v11, v8, v5
	v_sub_f32_e32 v5, v8, v5
	v_sub_f32_e32 v8, v15, v25
	v_dual_add_f32 v16, v17, v23 :: v_dual_add_f32 v15, v12, v6
	v_sub_f32_e32 v6, v12, v6
	v_sub_f32_e32 v12, v17, v23
	s_delay_alu instid0(VALU_DEP_3)
	v_add_f32_e32 v20, v16, v14
	v_sub_f32_e32 v22, v16, v14
	v_sub_f32_e32 v14, v14, v18
	v_dual_add_f32 v17, v13, v10 :: v_dual_sub_f32 v10, v10, v13
	v_dual_sub_f32 v13, v21, v19 :: v_dual_sub_f32 v16, v18, v16
	v_add_f32_e32 v19, v15, v11
	v_sub_f32_e32 v21, v15, v11
	s_delay_alu instid0(VALU_DEP_3)
	v_dual_sub_f32 v25, v10, v6 :: v_dual_add_f32 v24, v13, v12
	v_add_f32_e32 v23, v10, v6
	v_dual_sub_f32 v29, v13, v12 :: v_dual_mul_f32 v14, 0x3f4a47b2, v14
	v_sub_f32_e32 v6, v6, v5
	v_sub_f32_e32 v11, v11, v17
	v_dual_sub_f32 v15, v17, v15 :: v_dual_add_f32 v18, v18, v20
	v_dual_add_f32 v17, v17, v19 :: v_dual_sub_f32 v12, v12, v8
	v_dual_sub_f32 v10, v5, v10 :: v_dual_sub_f32 v13, v8, v13
	v_dual_add_f32 v8, v24, v8 :: v_dual_add_f32 v5, v23, v5
	s_delay_alu instid0(VALU_DEP_4) | instskip(SKIP_4) | instid1(VALU_DEP_4)
	v_add_f32_e32 v28, v28, v18
	v_mul_f32_e32 v20, 0x3d64c772, v16
	v_mul_f32_e32 v24, 0xbf08b237, v29
	v_add_f32_e32 v7, v7, v17
	v_dual_mul_f32 v19, 0x3d64c772, v15 :: v_dual_fmamk_f32 v16, v16, 0x3d64c772, v14
	v_fma_f32 v20, 0x3f3bfb3b, v22, -v20
	v_fma_f32 v14, 0xbf3bfb3b, v22, -v14
	v_fmamk_f32 v22, v13, 0x3eae86e6, v24
	v_dual_fmamk_f32 v17, v17, 0xbf955555, v7 :: v_dual_fmamk_f32 v18, v18, 0xbf955555, v28
	v_mul_f32_e32 v29, 0x3f5ff5aa, v12
	v_mul_f32_e32 v11, 0x3f4a47b2, v11
	v_fma_f32 v12, 0x3f5ff5aa, v12, -v24
	s_delay_alu instid0(VALU_DEP_4) | instskip(NEXT) | instid1(VALU_DEP_4)
	v_dual_mul_f32 v23, 0xbf08b237, v25 :: v_dual_add_f32 v14, v14, v18
	v_fma_f32 v13, 0xbeae86e6, v13, -v29
	v_fma_f32 v19, 0x3f3bfb3b, v21, -v19
	v_fmac_f32_e32 v22, 0x3ee1c552, v8
	v_fmac_f32_e32 v12, 0x3ee1c552, v8
	s_delay_alu instid0(VALU_DEP_4) | instskip(SKIP_3) | instid1(VALU_DEP_2)
	v_dual_fmac_f32 v13, 0x3ee1c552, v8 :: v_dual_add_f32 v8, v16, v18
	v_fmamk_f32 v15, v15, 0x3d64c772, v11
	v_fma_f32 v11, 0xbf3bfb3b, v21, -v11
	v_dual_fmamk_f32 v21, v10, 0x3eae86e6, v23 :: v_dual_add_f32 v16, v20, v18
	v_add_f32_e32 v11, v11, v17
	v_mul_f32_e32 v25, 0x3f5ff5aa, v6
	v_fma_f32 v6, 0x3f5ff5aa, v6, -v23
	s_delay_alu instid0(VALU_DEP_3) | instskip(NEXT) | instid1(VALU_DEP_3)
	v_add_f32_e32 v18, v13, v11
	v_fma_f32 v10, 0xbeae86e6, v10, -v25
	s_delay_alu instid0(VALU_DEP_3) | instskip(SKIP_1) | instid1(VALU_DEP_3)
	v_fmac_f32_e32 v6, 0x3ee1c552, v5
	v_fmac_f32_e32 v21, 0x3ee1c552, v5
	;; [unrolled: 1-line block ×3, first 2 shown]
	s_delay_alu instid0(VALU_DEP_1) | instskip(SKIP_1) | instid1(VALU_DEP_2)
	v_dual_sub_f32 v24, v14, v10 :: v_dual_add_f32 v5, v15, v17
	v_add_f32_e32 v15, v19, v17
	v_add_f32_e32 v17, v22, v5
	s_delay_alu instid0(VALU_DEP_2)
	v_sub_f32_e32 v19, v15, v12
	v_dual_add_f32 v25, v6, v16 :: v_dual_sub_f32 v6, v16, v6
	v_sub_f32_e32 v23, v8, v21
	v_add_f32_e32 v12, v12, v15
	v_add_f32_e32 v10, v10, v14
	v_dual_add_f32 v8, v21, v8 :: v_dual_sub_f32 v11, v11, v13
	v_sub_f32_e32 v5, v5, v22
	ds_store_2addr_b32 v9, v7, v17 offset1:5
	ds_store_2addr_b32 v9, v18, v19 offset0:10 offset1:15
	ds_store_2addr_b32 v9, v12, v11 offset0:20 offset1:25
	ds_store_b32 v9, v5 offset:120
	global_wb scope:SCOPE_SE
	s_wait_dscnt 0x0
	s_barrier_signal -1
	s_barrier_wait -1
	global_inv scope:SCOPE_SE
	ds_load_2addr_b32 v[17:18], v0 offset1:245
	ds_load_2addr_b32 v[19:20], v36 offset0:10 offset1:255
	ds_load_2addr_b32 v[21:22], v37 offset0:4 offset1:249
	ds_load_b32 v32, v0 offset:5880
	global_wb scope:SCOPE_SE
	s_wait_dscnt 0x0
	s_barrier_signal -1
	s_barrier_wait -1
	global_inv scope:SCOPE_SE
	ds_store_2addr_b32 v9, v28, v23 offset1:5
	ds_store_2addr_b32 v9, v24, v25 offset0:10 offset1:15
	ds_store_2addr_b32 v9, v6, v10 offset0:20 offset1:25
	ds_store_b32 v9, v8 offset:120
	global_wb scope:SCOPE_SE
	s_wait_dscnt 0x0
	s_barrier_signal -1
	s_barrier_wait -1
	global_inv scope:SCOPE_SE
	s_clause 0x2
	global_load_b128 v[5:8], v34, s[8:9] offset:240
	global_load_b128 v[9:12], v34, s[8:9] offset:256
	;; [unrolled: 1-line block ×3, first 2 shown]
	ds_load_2addr_b32 v[23:24], v0 offset1:245
	ds_load_2addr_b32 v[28:29], v36 offset0:10 offset1:255
	ds_load_2addr_b32 v[30:31], v37 offset0:4 offset1:249
	ds_load_b32 v34, v0 offset:5880
	v_and_b32_e32 v25, 0xffff, v35
	v_lshlrev_b32_e32 v33, 2, v38
	global_wb scope:SCOPE_SE
	s_wait_loadcnt_dscnt 0x0
	s_barrier_signal -1
	s_barrier_wait -1
	global_inv scope:SCOPE_SE
	v_dual_mul_f32 v35, v28, v8 :: v_dual_mul_f32 v38, v29, v10
	v_mul_f32_e32 v40, v31, v14
	v_mul_f32_e32 v10, v20, v10
	v_mul_u32_u24_e32 v25, 0x3d4, v25
	v_mul_f32_e32 v8, v19, v8
	v_mul_f32_e32 v39, v30, v12
	;; [unrolled: 1-line block ×4, first 2 shown]
	v_add3_u32 v25, 0, v25, v33
	v_fmac_f32_e32 v8, v28, v7
	v_dual_mul_f32 v33, v24, v6 :: v_dual_fmac_f32 v10, v29, v9
	v_mul_f32_e32 v6, v18, v6
	v_mul_f32_e32 v16, v32, v16
	s_delay_alu instid0(VALU_DEP_3) | instskip(NEXT) | instid1(VALU_DEP_3)
	v_fma_f32 v18, v18, v5, -v33
	v_fmac_f32_e32 v6, v24, v5
	v_fma_f32 v5, v19, v7, -v35
	v_fma_f32 v7, v20, v9, -v38
	;; [unrolled: 1-line block ×4, first 2 shown]
	v_fmac_f32_e32 v16, v34, v15
	v_fmac_f32_e32 v12, v30, v11
	v_fma_f32 v11, v22, v13, -v40
	v_mul_f32_e32 v14, v22, v14
	s_delay_alu instid0(VALU_DEP_4) | instskip(SKIP_1) | instid1(VALU_DEP_4)
	v_add_f32_e32 v15, v6, v16
	v_sub_f32_e32 v6, v6, v16
	v_add_f32_e32 v16, v5, v11
	s_delay_alu instid0(VALU_DEP_4)
	v_dual_sub_f32 v5, v5, v11 :: v_dual_fmac_f32 v14, v31, v13
	v_add_f32_e32 v13, v18, v19
	v_dual_sub_f32 v18, v18, v19 :: v_dual_add_f32 v11, v7, v9
	v_sub_f32_e32 v7, v9, v7
	v_sub_f32_e32 v9, v12, v10
	v_add_f32_e32 v19, v8, v14
	v_sub_f32_e32 v8, v8, v14
	v_add_f32_e32 v14, v10, v12
	v_add_f32_e32 v10, v16, v13
	s_delay_alu instid0(VALU_DEP_4) | instskip(NEXT) | instid1(VALU_DEP_4)
	v_dual_sub_f32 v20, v16, v13 :: v_dual_sub_f32 v21, v19, v15
	v_dual_add_f32 v12, v19, v15 :: v_dual_sub_f32 v29, v9, v8
	v_sub_f32_e32 v13, v13, v11
	v_sub_f32_e32 v15, v15, v14
	v_dual_sub_f32 v16, v11, v16 :: v_dual_sub_f32 v19, v14, v19
	v_add_f32_e32 v22, v7, v5
	v_dual_sub_f32 v28, v7, v5 :: v_dual_sub_f32 v7, v18, v7
	v_add_f32_e32 v10, v11, v10
	v_dual_add_f32 v24, v9, v8 :: v_dual_sub_f32 v9, v6, v9
	v_sub_f32_e32 v5, v5, v18
	v_dual_sub_f32 v8, v8, v6 :: v_dual_mul_f32 v13, 0x3f4a47b2, v13
	v_add_f32_e32 v11, v14, v12
	v_add_f32_e32 v12, v22, v18
	v_mul_f32_e32 v14, 0x3f4a47b2, v15
	v_mul_f32_e32 v15, 0x3d64c772, v16
	v_dual_add_f32 v17, v17, v10 :: v_dual_mul_f32 v18, 0x3d64c772, v19
	v_dual_add_f32 v6, v24, v6 :: v_dual_add_f32 v23, v23, v11
	v_mul_f32_e32 v24, 0xbf08b237, v29
	v_mul_f32_e32 v29, 0x3f5ff5aa, v8
	v_fmamk_f32 v19, v19, 0x3d64c772, v14
	v_fma_f32 v18, 0x3f3bfb3b, v21, -v18
	v_mul_f32_e32 v22, 0xbf08b237, v28
	v_mul_f32_e32 v28, 0x3f5ff5aa, v5
	v_fmamk_f32 v16, v16, 0x3d64c772, v13
	v_fma_f32 v15, 0x3f3bfb3b, v20, -v15
	v_fma_f32 v13, 0xbf3bfb3b, v20, -v13
	;; [unrolled: 1-line block ×3, first 2 shown]
	v_fmamk_f32 v20, v7, 0x3eae86e6, v22
	v_fma_f32 v22, 0x3f5ff5aa, v5, -v22
	v_fma_f32 v5, 0x3f5ff5aa, v8, -v24
	v_fmamk_f32 v8, v10, 0xbf955555, v17
	v_fmamk_f32 v21, v9, 0x3eae86e6, v24
	v_fma_f32 v24, 0xbeae86e6, v7, -v28
	v_fma_f32 v7, 0xbeae86e6, v9, -v29
	v_fmac_f32_e32 v5, 0x3ee1c552, v6
	v_dual_fmamk_f32 v9, v11, 0xbf955555, v23 :: v_dual_add_f32 v10, v13, v8
	v_dual_fmac_f32 v21, 0x3ee1c552, v6 :: v_dual_fmac_f32 v22, 0x3ee1c552, v12
	s_delay_alu instid0(VALU_DEP_4) | instskip(SKIP_1) | instid1(VALU_DEP_4)
	v_dual_fmac_f32 v7, 0x3ee1c552, v6 :: v_dual_add_f32 v6, v16, v8
	v_add_f32_e32 v8, v15, v8
	v_dual_fmac_f32 v24, 0x3ee1c552, v12 :: v_dual_add_f32 v13, v18, v9
	s_delay_alu instid0(VALU_DEP_3) | instskip(NEXT) | instid1(VALU_DEP_3)
	v_add_f32_e32 v15, v7, v10
	v_dual_add_f32 v11, v21, v6 :: v_dual_sub_f32 v16, v8, v5
	v_add_f32_e32 v5, v5, v8
	v_sub_f32_e32 v7, v10, v7
	v_sub_f32_e32 v6, v6, v21
	v_fmac_f32_e32 v20, 0x3ee1c552, v12
	v_add_f32_e32 v12, v19, v9
	v_add_f32_e32 v14, v14, v9
	ds_store_2addr_b32 v25, v17, v11 offset1:35
	ds_store_2addr_b32 v25, v15, v16 offset0:70 offset1:105
	ds_store_2addr_b32 v25, v5, v7 offset0:140 offset1:175
	ds_store_b32 v25, v6 offset:840
	global_wb scope:SCOPE_SE
	s_wait_dscnt 0x0
	s_barrier_signal -1
	s_barrier_wait -1
	global_inv scope:SCOPE_SE
	ds_load_2addr_b32 v[5:6], v0 offset1:245
	ds_load_2addr_b32 v[7:8], v36 offset0:10 offset1:255
	ds_load_2addr_b32 v[9:10], v37 offset0:4 offset1:249
	ds_load_b32 v11, v0 offset:5880
	v_add_f32_e32 v17, v22, v13
	v_sub_f32_e32 v13, v13, v22
	v_sub_f32_e32 v15, v12, v20
	;; [unrolled: 1-line block ×3, first 2 shown]
	v_add_f32_e32 v14, v24, v14
	v_add_f32_e32 v12, v20, v12
	global_wb scope:SCOPE_SE
	s_wait_dscnt 0x0
	s_barrier_signal -1
	s_barrier_wait -1
	global_inv scope:SCOPE_SE
	ds_store_2addr_b32 v25, v23, v15 offset1:35
	ds_store_2addr_b32 v25, v16, v17 offset0:70 offset1:105
	ds_store_2addr_b32 v25, v13, v14 offset0:140 offset1:175
	ds_store_b32 v25, v12 offset:840
	global_wb scope:SCOPE_SE
	s_wait_dscnt 0x0
	s_barrier_signal -1
	s_barrier_wait -1
	global_inv scope:SCOPE_SE
	s_and_saveexec_b32 s0, vcc_lo
	s_cbranch_execz .LBB0_21
; %bb.20:
	v_mul_u32_u24_e32 v12, 6, v26
	v_mad_co_u64_u32 v[28:29], null, s16, v27, 0
	v_add_nc_u32_e32 v47, 0x1ea, v27
	v_mul_lo_u32 v26, s3, v3
	v_mul_lo_u32 v44, s2, v4
	v_mad_co_u64_u32 v[3:4], null, s2, v3, 0
	s_delay_alu instid0(VALU_DEP_4)
	v_mad_co_u64_u32 v[36:37], null, s16, v47, 0
	v_lshlrev_b32_e32 v20, 3, v12
	s_clause 0x2
	global_load_b128 v[12:15], v20, s[8:9] offset:1920
	global_load_b128 v[16:19], v20, s[8:9] offset:1952
	;; [unrolled: 1-line block ×3, first 2 shown]
	ds_load_2addr_b32 v[24:25], v0 offset1:245
	ds_load_b32 v52, v0 offset:5880
	v_add_nc_u32_e32 v51, 0x5be, v27
	v_add_nc_u32_e32 v50, 0x4c9, v27
	;; [unrolled: 1-line block ×3, first 2 shown]
	v_add3_u32 v4, v4, v44, v26
	s_delay_alu instid0(VALU_DEP_4) | instskip(SKIP_4) | instid1(VALU_DEP_4)
	v_mad_co_u64_u32 v[44:45], null, s16, v51, 0
	v_add_nc_u32_e32 v48, 0x2df, v27
	v_mad_co_u64_u32 v[42:43], null, s16, v50, 0
	v_mad_co_u64_u32 v[40:41], null, s16, v49, 0
	v_add_nc_u32_e32 v32, 0x780, v0
	v_mad_co_u64_u32 v[38:39], null, s16, v48, 0
	v_add_nc_u32_e32 v30, 0xf40, v0
	v_lshlrev_b64_e32 v[0:1], 3, v[1:2]
	v_mov_b32_e32 v2, v29
	s_delay_alu instid0(VALU_DEP_4) | instskip(NEXT) | instid1(VALU_DEP_2)
	v_dual_mov_b32 v29, v39 :: v_dual_add_nc_u32 v46, 0xf5, v27
	v_mad_co_u64_u32 v[26:27], null, s17, v27, v[2:3]
	v_mov_b32_e32 v27, v37
	v_mov_b32_e32 v37, v43
	s_delay_alu instid0(VALU_DEP_4) | instskip(SKIP_1) | instid1(VALU_DEP_2)
	v_mad_co_u64_u32 v[34:35], null, s16, v46, 0
	v_lshlrev_b64_e32 v[2:3], 3, v[3:4]
	v_dual_mov_b32 v39, v45 :: v_dual_mov_b32 v4, v35
	v_mov_b32_e32 v35, v41
	ds_load_2addr_b32 v[30:31], v30 offset0:4 offset1:249
	ds_load_2addr_b32 v[32:33], v32 offset0:10 offset1:255
	v_add_co_u32 v2, vcc_lo, s6, v2
	v_mad_co_u64_u32 v[45:46], null, s17, v46, v[4:5]
	v_mad_co_u64_u32 v[46:47], null, s17, v47, v[27:28]
	s_wait_alu 0xfffd
	v_add_co_ci_u32_e32 v3, vcc_lo, s7, v3, vcc_lo
	v_add_co_u32 v4, vcc_lo, v2, v0
	s_wait_dscnt 0x1
	v_mad_co_u64_u32 v[47:48], null, s17, v48, v[29:30]
	v_mad_co_u64_u32 v[48:49], null, s17, v49, v[35:36]
	v_mov_b32_e32 v29, v26
	v_mad_co_u64_u32 v[49:50], null, s17, v50, v[37:38]
	v_mov_b32_e32 v35, v45
	;; [unrolled: 2-line block ×3, first 2 shown]
	s_wait_alu 0xfffd
	v_add_co_ci_u32_e32 v51, vcc_lo, v3, v1, vcc_lo
	v_mov_b32_e32 v37, v46
	v_mov_b32_e32 v43, v49
	v_lshlrev_b64_e32 v[2:3], 3, v[34:35]
	v_lshlrev_b64_e32 v[34:35], 3, v[40:41]
	;; [unrolled: 1-line block ×5, first 2 shown]
	s_delay_alu instid0(VALU_DEP_3) | instskip(SKIP_1) | instid1(VALU_DEP_4)
	v_add_co_u32 v0, vcc_lo, v4, v0
	s_wait_alu 0xfffd
	v_add_co_ci_u32_e32 v1, vcc_lo, v51, v1, vcc_lo
	v_add_co_u32 v2, vcc_lo, v4, v2
	s_wait_alu 0xfffd
	v_add_co_ci_u32_e32 v3, vcc_lo, v51, v3, vcc_lo
	v_add_co_u32 v26, vcc_lo, v4, v26
	s_wait_alu 0xfffd
	v_add_co_ci_u32_e32 v27, vcc_lo, v51, v27, vcc_lo
	s_wait_loadcnt 0x1
	v_mul_f32_e32 v40, v52, v19
	s_wait_loadcnt_dscnt 0x0
	v_dual_mul_f32 v19, v11, v19 :: v_dual_mul_f32 v42, v33, v21
	s_delay_alu instid0(VALU_DEP_1) | instskip(SKIP_1) | instid1(VALU_DEP_3)
	v_fmac_f32_e32 v19, v18, v52
	v_mul_f32_e32 v21, v8, v21
	v_fma_f32 v8, v8, v20, -v42
	v_mov_b32_e32 v45, v50
	s_delay_alu instid0(VALU_DEP_3) | instskip(SKIP_2) | instid1(VALU_DEP_2)
	v_fmac_f32_e32 v21, v20, v33
	v_mul_f32_e32 v41, v30, v23
	v_mul_f32_e32 v23, v9, v23
	v_fma_f32 v9, v9, v22, -v41
	v_mov_b32_e32 v39, v47
	s_delay_alu instid0(VALU_DEP_1) | instskip(SKIP_2) | instid1(VALU_DEP_3)
	v_lshlrev_b64_e32 v[28:29], 3, v[38:39]
	v_lshlrev_b64_e32 v[38:39], 3, v[44:45]
	v_mul_f32_e32 v44, v31, v17
	v_add_co_u32 v28, vcc_lo, v4, v28
	s_wait_alu 0xfffd
	s_delay_alu instid0(VALU_DEP_4)
	v_add_co_ci_u32_e32 v29, vcc_lo, v51, v29, vcc_lo
	v_add_co_u32 v34, vcc_lo, v4, v34
	s_wait_alu 0xfffd
	v_add_co_ci_u32_e32 v35, vcc_lo, v51, v35, vcc_lo
	v_add_co_u32 v36, vcc_lo, v4, v36
	s_wait_alu 0xfffd
	v_add_co_ci_u32_e32 v37, vcc_lo, v51, v37, vcc_lo
	v_add_co_u32 v38, vcc_lo, v4, v38
	v_mul_f32_e32 v4, v25, v13
	v_mul_f32_e32 v13, v6, v13
	s_wait_alu 0xfffd
	v_add_co_ci_u32_e32 v39, vcc_lo, v51, v39, vcc_lo
	s_delay_alu instid0(VALU_DEP_3) | instskip(SKIP_1) | instid1(VALU_DEP_1)
	v_fma_f32 v4, v6, v12, -v4
	v_fma_f32 v6, v11, v18, -v40
	v_sub_f32_e32 v11, v4, v6
	v_add_f32_e32 v4, v4, v6
	v_dual_add_f32 v6, v9, v8 :: v_dual_fmac_f32 v13, v12, v25
	v_dual_sub_f32 v12, v9, v8 :: v_dual_mul_f32 v17, v10, v17
	v_fma_f32 v10, v10, v16, -v44
	s_delay_alu instid0(VALU_DEP_3) | instskip(NEXT) | instid1(VALU_DEP_3)
	v_sub_f32_e32 v8, v13, v19
	v_fmac_f32_e32 v17, v16, v31
	v_mul_f32_e32 v43, v32, v15
	v_mul_f32_e32 v15, v7, v15
	s_delay_alu instid0(VALU_DEP_1) | instskip(NEXT) | instid1(VALU_DEP_1)
	v_fmac_f32_e32 v15, v14, v32
	v_add_f32_e32 v20, v15, v17
	s_delay_alu instid0(VALU_DEP_4) | instskip(NEXT) | instid1(VALU_DEP_1)
	v_fma_f32 v7, v7, v14, -v43
	v_sub_f32_e32 v14, v7, v10
	v_add_f32_e32 v7, v7, v10
	v_dual_sub_f32 v10, v15, v17 :: v_dual_fmac_f32 v23, v22, v30
	v_sub_f32_e32 v22, v4, v6
	s_delay_alu instid0(VALU_DEP_3) | instskip(NEXT) | instid1(VALU_DEP_3)
	v_dual_add_f32 v25, v4, v7 :: v_dual_sub_f32 v4, v7, v4
	v_sub_f32_e32 v9, v23, v21
	v_dual_add_f32 v18, v23, v21 :: v_dual_sub_f32 v23, v6, v7
	s_delay_alu instid0(VALU_DEP_2) | instskip(NEXT) | instid1(VALU_DEP_2)
	v_dual_sub_f32 v7, v10, v8 :: v_dual_sub_f32 v30, v8, v9
	v_dual_add_f32 v16, v13, v19 :: v_dual_sub_f32 v19, v18, v20
	s_delay_alu instid0(VALU_DEP_1) | instskip(SKIP_3) | instid1(VALU_DEP_4)
	v_add_f32_e32 v21, v16, v20
	v_sub_f32_e32 v17, v16, v18
	v_sub_f32_e32 v16, v20, v16
	v_dual_mul_f32 v20, 0x3d64c772, v23 :: v_dual_sub_f32 v15, v12, v14
	v_add_f32_e32 v18, v18, v21
	v_add_f32_e32 v21, v6, v25
	s_delay_alu instid0(VALU_DEP_2) | instskip(SKIP_3) | instid1(VALU_DEP_3)
	v_dual_mul_f32 v25, 0x3f5ff5aa, v7 :: v_dual_add_f32 v6, v24, v18
	v_sub_f32_e32 v31, v9, v10
	v_dual_add_f32 v9, v9, v10 :: v_dual_mul_f32 v10, 0xbf08b237, v15
	v_dual_sub_f32 v13, v11, v12 :: v_dual_add_f32 v12, v12, v14
	v_mul_f32_e32 v23, 0xbf08b237, v31
	v_sub_f32_e32 v14, v14, v11
	s_delay_alu instid0(VALU_DEP_3) | instskip(NEXT) | instid1(VALU_DEP_3)
	v_dual_add_f32 v8, v8, v9 :: v_dual_fmamk_f32 v31, v13, 0x3eae86e6, v10
	v_dual_add_f32 v5, v5, v21 :: v_dual_fmamk_f32 v24, v30, 0x3eae86e6, v23
	s_delay_alu instid0(VALU_DEP_3)
	v_mul_f32_e32 v9, 0x3f5ff5aa, v14
	v_fma_f32 v10, 0x3f5ff5aa, v14, -v10
	v_fma_f32 v14, 0x3f5ff5aa, v7, -v23
	v_fmamk_f32 v7, v18, 0xbf955555, v6
	v_dual_add_f32 v11, v11, v12 :: v_dual_mul_f32 v12, 0x3f4a47b2, v17
	v_fmac_f32_e32 v24, 0x3ee1c552, v8
	v_mul_f32_e32 v15, 0x3d64c772, v19
	v_dual_mul_f32 v19, 0x3f4a47b2, v22 :: v_dual_fmamk_f32 v22, v22, 0x3f4a47b2, v20
	v_fma_f32 v13, 0xbeae86e6, v13, -v9
	v_fma_f32 v9, 0xbf3bfb3b, v16, -v12
	s_delay_alu instid0(VALU_DEP_4) | instskip(NEXT) | instid1(VALU_DEP_4)
	v_fmamk_f32 v17, v17, 0x3f4a47b2, v15
	v_fma_f32 v12, 0xbf3bfb3b, v4, -v19
	v_fma_f32 v19, 0xbeae86e6, v30, -v25
	;; [unrolled: 1-line block ×3, first 2 shown]
	v_fmamk_f32 v16, v21, 0xbf955555, v5
	v_fma_f32 v4, 0x3f3bfb3b, v4, -v20
	v_fmac_f32_e32 v14, 0x3ee1c552, v8
	v_fmac_f32_e32 v19, 0x3ee1c552, v8
	global_store_b64 v[0:1], v[5:6], off
	v_add_f32_e32 v6, v17, v7
	v_fmac_f32_e32 v31, 0x3ee1c552, v11
	v_fmac_f32_e32 v13, 0x3ee1c552, v11
	v_fmac_f32_e32 v10, 0x3ee1c552, v11
	v_dual_add_f32 v8, v22, v16 :: v_dual_add_f32 v11, v9, v7
	v_add_f32_e32 v17, v12, v16
	v_dual_add_f32 v9, v15, v7 :: v_dual_add_f32 v4, v4, v16
	s_delay_alu instid0(VALU_DEP_3) | instskip(SKIP_2) | instid1(VALU_DEP_4)
	v_dual_add_f32 v12, v24, v8 :: v_dual_add_f32 v5, v13, v11
	v_sub_f32_e32 v11, v11, v13
	v_sub_f32_e32 v13, v6, v31
	;; [unrolled: 1-line block ×3, first 2 shown]
	v_add_f32_e32 v9, v10, v9
	v_add_f32_e32 v10, v19, v17
	v_sub_f32_e32 v0, v8, v24
	v_sub_f32_e32 v8, v4, v14
	v_dual_add_f32 v1, v31, v6 :: v_dual_add_f32 v6, v14, v4
	v_sub_f32_e32 v4, v17, v19
	s_clause 0x5
	global_store_b64 v[2:3], v[12:13], off
	global_store_b64 v[26:27], v[10:11], off
	;; [unrolled: 1-line block ×6, first 2 shown]
.LBB0_21:
	s_nop 0
	s_sendmsg sendmsg(MSG_DEALLOC_VGPRS)
	s_endpgm
	.section	.rodata,"a",@progbits
	.p2align	6, 0x0
	.amdhsa_kernel fft_rtc_fwd_len1715_factors_5_7_7_7_wgs_245_tpt_245_halfLds_sp_op_CI_CI_sbrr_dirReg
		.amdhsa_group_segment_fixed_size 0
		.amdhsa_private_segment_fixed_size 0
		.amdhsa_kernarg_size 104
		.amdhsa_user_sgpr_count 2
		.amdhsa_user_sgpr_dispatch_ptr 0
		.amdhsa_user_sgpr_queue_ptr 0
		.amdhsa_user_sgpr_kernarg_segment_ptr 1
		.amdhsa_user_sgpr_dispatch_id 0
		.amdhsa_user_sgpr_private_segment_size 0
		.amdhsa_wavefront_size32 1
		.amdhsa_uses_dynamic_stack 0
		.amdhsa_enable_private_segment 0
		.amdhsa_system_sgpr_workgroup_id_x 1
		.amdhsa_system_sgpr_workgroup_id_y 0
		.amdhsa_system_sgpr_workgroup_id_z 0
		.amdhsa_system_sgpr_workgroup_info 0
		.amdhsa_system_vgpr_workitem_id 0
		.amdhsa_next_free_vgpr 53
		.amdhsa_next_free_sgpr 43
		.amdhsa_reserve_vcc 1
		.amdhsa_float_round_mode_32 0
		.amdhsa_float_round_mode_16_64 0
		.amdhsa_float_denorm_mode_32 3
		.amdhsa_float_denorm_mode_16_64 3
		.amdhsa_fp16_overflow 0
		.amdhsa_workgroup_processor_mode 1
		.amdhsa_memory_ordered 1
		.amdhsa_forward_progress 0
		.amdhsa_round_robin_scheduling 0
		.amdhsa_exception_fp_ieee_invalid_op 0
		.amdhsa_exception_fp_denorm_src 0
		.amdhsa_exception_fp_ieee_div_zero 0
		.amdhsa_exception_fp_ieee_overflow 0
		.amdhsa_exception_fp_ieee_underflow 0
		.amdhsa_exception_fp_ieee_inexact 0
		.amdhsa_exception_int_div_zero 0
	.end_amdhsa_kernel
	.text
.Lfunc_end0:
	.size	fft_rtc_fwd_len1715_factors_5_7_7_7_wgs_245_tpt_245_halfLds_sp_op_CI_CI_sbrr_dirReg, .Lfunc_end0-fft_rtc_fwd_len1715_factors_5_7_7_7_wgs_245_tpt_245_halfLds_sp_op_CI_CI_sbrr_dirReg
                                        ; -- End function
	.section	.AMDGPU.csdata,"",@progbits
; Kernel info:
; codeLenInByte = 6692
; NumSgprs: 45
; NumVgprs: 53
; ScratchSize: 0
; MemoryBound: 0
; FloatMode: 240
; IeeeMode: 1
; LDSByteSize: 0 bytes/workgroup (compile time only)
; SGPRBlocks: 5
; VGPRBlocks: 6
; NumSGPRsForWavesPerEU: 45
; NumVGPRsForWavesPerEU: 53
; Occupancy: 16
; WaveLimiterHint : 1
; COMPUTE_PGM_RSRC2:SCRATCH_EN: 0
; COMPUTE_PGM_RSRC2:USER_SGPR: 2
; COMPUTE_PGM_RSRC2:TRAP_HANDLER: 0
; COMPUTE_PGM_RSRC2:TGID_X_EN: 1
; COMPUTE_PGM_RSRC2:TGID_Y_EN: 0
; COMPUTE_PGM_RSRC2:TGID_Z_EN: 0
; COMPUTE_PGM_RSRC2:TIDIG_COMP_CNT: 0
	.text
	.p2alignl 7, 3214868480
	.fill 96, 4, 3214868480
	.type	__hip_cuid_9737f5af9fb09831,@object ; @__hip_cuid_9737f5af9fb09831
	.section	.bss,"aw",@nobits
	.globl	__hip_cuid_9737f5af9fb09831
__hip_cuid_9737f5af9fb09831:
	.byte	0                               ; 0x0
	.size	__hip_cuid_9737f5af9fb09831, 1

	.ident	"AMD clang version 19.0.0git (https://github.com/RadeonOpenCompute/llvm-project roc-6.4.0 25133 c7fe45cf4b819c5991fe208aaa96edf142730f1d)"
	.section	".note.GNU-stack","",@progbits
	.addrsig
	.addrsig_sym __hip_cuid_9737f5af9fb09831
	.amdgpu_metadata
---
amdhsa.kernels:
  - .args:
      - .actual_access:  read_only
        .address_space:  global
        .offset:         0
        .size:           8
        .value_kind:     global_buffer
      - .offset:         8
        .size:           8
        .value_kind:     by_value
      - .actual_access:  read_only
        .address_space:  global
        .offset:         16
        .size:           8
        .value_kind:     global_buffer
      - .actual_access:  read_only
        .address_space:  global
        .offset:         24
        .size:           8
        .value_kind:     global_buffer
      - .actual_access:  read_only
        .address_space:  global
        .offset:         32
        .size:           8
        .value_kind:     global_buffer
      - .offset:         40
        .size:           8
        .value_kind:     by_value
      - .actual_access:  read_only
        .address_space:  global
        .offset:         48
        .size:           8
        .value_kind:     global_buffer
      - .actual_access:  read_only
        .address_space:  global
        .offset:         56
        .size:           8
        .value_kind:     global_buffer
      - .offset:         64
        .size:           4
        .value_kind:     by_value
      - .actual_access:  read_only
        .address_space:  global
        .offset:         72
        .size:           8
        .value_kind:     global_buffer
      - .actual_access:  read_only
        .address_space:  global
        .offset:         80
        .size:           8
        .value_kind:     global_buffer
      - .actual_access:  read_only
        .address_space:  global
        .offset:         88
        .size:           8
        .value_kind:     global_buffer
      - .actual_access:  write_only
        .address_space:  global
        .offset:         96
        .size:           8
        .value_kind:     global_buffer
    .group_segment_fixed_size: 0
    .kernarg_segment_align: 8
    .kernarg_segment_size: 104
    .language:       OpenCL C
    .language_version:
      - 2
      - 0
    .max_flat_workgroup_size: 245
    .name:           fft_rtc_fwd_len1715_factors_5_7_7_7_wgs_245_tpt_245_halfLds_sp_op_CI_CI_sbrr_dirReg
    .private_segment_fixed_size: 0
    .sgpr_count:     45
    .sgpr_spill_count: 0
    .symbol:         fft_rtc_fwd_len1715_factors_5_7_7_7_wgs_245_tpt_245_halfLds_sp_op_CI_CI_sbrr_dirReg.kd
    .uniform_work_group_size: 1
    .uses_dynamic_stack: false
    .vgpr_count:     53
    .vgpr_spill_count: 0
    .wavefront_size: 32
    .workgroup_processor_mode: 1
amdhsa.target:   amdgcn-amd-amdhsa--gfx1201
amdhsa.version:
  - 1
  - 2
...

	.end_amdgpu_metadata
